;; amdgpu-corpus repo=ROCm/rocm-libraries kind=compiled arch=gfx1030 opt=O3
	.amdgcn_target "amdgcn-amd-amdhsa--gfx1030"
	.amdhsa_code_object_version 6
	.text
	.protected	KthvalueFwd             ; -- Begin function KthvalueFwd
	.globl	KthvalueFwd
	.p2align	8
	.type	KthvalueFwd,@function
KthvalueFwd:                            ; @KthvalueFwd
; %bb.0:
	s_load_dwordx4 s[0:3], s[4:5], 0x30
	s_mov_b32 s7, 0
	s_waitcnt lgkmcnt(0)
	v_cmp_le_u64_e64 s0, s[0:1], s[6:7]
	s_and_b32 vcc_lo, exec_lo, s0
	s_cbranch_vccnz .LBB0_70
; %bb.1:
	s_clause 0x3
	s_load_dwordx2 s[66:67], s[4:5], 0x70
	s_load_dwordx8 s[36:43], s[4:5], 0x0
	s_load_dwordx4 s[60:63], s[4:5], 0x20
	s_load_dwordx4 s[0:3], s[4:5], 0x60
	s_mov_b64 s[68:69], 0
	s_mov_b64 s[70:71], 0
	s_waitcnt lgkmcnt(0)
	v_cmp_lt_u64_e64 s8, s[6:7], s[66:67]
	s_and_b32 vcc_lo, exec_lo, s8
	s_cbranch_vccnz .LBB0_3
; %bb.2:
	v_cvt_f32_u32_e32 v1, s66
	s_sub_i32 s9, 0, s66
	s_mov_b32 s71, 0
	v_rcp_iflag_f32_e32 v1, v1
	v_mul_f32_e32 v1, 0x4f7ffffe, v1
	v_cvt_u32_f32_e32 v1, v1
	v_readfirstlane_b32 s8, v1
	s_mul_i32 s9, s9, s8
	s_mul_hi_u32 s9, s8, s9
	s_add_i32 s8, s8, s9
	s_mul_hi_u32 s8, s6, s8
	s_mul_i32 s9, s8, s66
	s_add_i32 s10, s8, 1
	s_sub_i32 s9, s6, s9
	s_sub_i32 s11, s9, s66
	s_cmp_ge_u32 s9, s66
	s_cselect_b32 s8, s10, s8
	s_cselect_b32 s9, s11, s9
	s_add_i32 s10, s8, 1
	s_cmp_ge_u32 s9, s66
	s_cselect_b32 s70, s10, s8
.LBB0_3:
	s_clause 0x1
	s_load_dwordx2 s[64:65], s[4:5], 0x98
	s_load_dwordx8 s[44:51], s[4:5], 0x78
	v_cmp_lt_u64_e64 s8, s[70:71], s[2:3]
	s_and_b32 vcc_lo, exec_lo, s8
	s_cbranch_vccnz .LBB0_5
; %bb.4:
	v_cvt_f32_u32_e32 v1, s2
	s_sub_i32 s9, 0, s2
	s_mov_b32 s69, 0
	v_rcp_iflag_f32_e32 v1, v1
	v_mul_f32_e32 v1, 0x4f7ffffe, v1
	v_cvt_u32_f32_e32 v1, v1
	v_readfirstlane_b32 s8, v1
	s_mul_i32 s9, s9, s8
	s_mul_hi_u32 s9, s8, s9
	s_add_i32 s8, s8, s9
	s_mul_hi_u32 s8, s70, s8
	s_mul_i32 s9, s8, s2
	s_add_i32 s10, s8, 1
	s_sub_i32 s9, s70, s9
	s_sub_i32 s11, s9, s2
	s_cmp_ge_u32 s9, s2
	s_cselect_b32 s8, s10, s8
	s_cselect_b32 s9, s11, s9
	s_add_i32 s10, s8, 1
	s_cmp_ge_u32 s9, s2
	s_cselect_b32 s68, s10, s8
.LBB0_5:
	s_clause 0x1
	s_load_dwordx2 s[34:35], s[4:5], 0xe8
	s_load_dwordx8 s[8:15], s[4:5], 0x38
	v_cmp_lt_u64_e64 s16, s[68:69], s[0:1]
	s_mov_b64 s[72:73], 0
	s_and_b32 vcc_lo, exec_lo, s16
	s_cbranch_vccnz .LBB0_7
; %bb.6:
	v_cvt_f32_u32_e32 v1, s0
	s_sub_i32 s17, 0, s0
	v_rcp_iflag_f32_e32 v1, v1
	v_mul_f32_e32 v1, 0x4f7ffffe, v1
	v_cvt_u32_f32_e32 v1, v1
	v_readfirstlane_b32 s16, v1
	s_mul_i32 s17, s17, s16
	s_mul_hi_u32 s17, s16, s17
	s_add_i32 s16, s16, s17
	s_mul_hi_u32 s16, s68, s16
	s_mul_i32 s17, s16, s0
	s_add_i32 s18, s16, 1
	s_sub_i32 s17, s68, s17
	s_sub_i32 s19, s17, s0
	s_cmp_ge_u32 s17, s0
	s_cselect_b32 s16, s18, s16
	s_cselect_b32 s17, s19, s17
	s_add_i32 s18, s16, 1
	s_cmp_ge_u32 s17, s0
	s_cselect_b32 s72, s18, s16
.LBB0_7:
	s_clause 0x1
	s_load_dwordx16 s[16:31], s[4:5], 0xa8
	s_load_dwordx8 s[52:59], s[4:5], 0xf8
	s_mul_i32 s3, s68, s3
	s_mul_hi_u32 s4, s68, s2
	s_mul_i32 s2, s68, s2
	s_add_i32 s4, s4, s3
	s_sub_u32 s33, s70, s2
	s_mul_i32 s2, s70, s67
	s_mul_hi_u32 s3, s70, s66
	s_mul_i32 s5, s70, s66
	s_subb_u32 s4, s71, s4
	s_add_i32 s3, s3, s2
	s_mul_i32 s1, s72, s1
	s_mul_hi_u32 s2, s72, s0
	s_sub_u32 s66, s6, s5
	s_mul_i32 s0, s72, s0
	s_subb_u32 s67, 0, s3
	s_add_i32 s2, s2, s1
	s_sub_u32 s0, s68, s0
	s_waitcnt lgkmcnt(0)
	s_mul_i32 s1, s72, s9
	s_mul_hi_u32 s3, s72, s8
	s_subb_u32 s5, s69, s2
	s_add_i32 s3, s3, s1
	s_mul_i32 s1, s0, s11
	s_mul_hi_u32 s9, s0, s10
	s_mul_i32 s2, s72, s8
	s_add_i32 s1, s9, s1
	s_mul_i32 s5, s5, s10
	s_mul_i32 s8, s33, s13
	s_mul_hi_u32 s9, s33, s12
	s_add_i32 s1, s1, s5
	s_add_i32 s5, s9, s8
	s_mul_i32 s4, s4, s12
	s_mul_i32 s8, s66, s15
	s_mul_hi_u32 s9, s66, s14
	s_add_i32 s5, s5, s4
	s_mul_i32 s4, s33, s12
	s_add_i32 s8, s9, s8
	s_mul_i32 s67, s67, s14
	s_lshl_b64 s[4:5], s[4:5], 2
	v_mov_b32_e32 v2, 0
	s_add_i32 s9, s8, s67
	s_mul_i32 s8, s66, s14
	s_add_u32 s11, s36, s4
	s_addc_u32 s12, s37, s5
	s_lshl_b64 s[4:5], s[8:9], 2
	s_mul_i32 s0, s0, s10
	s_add_u32 s8, s11, s4
	v_mov_b32_e32 v1, v2
	s_addc_u32 s9, s12, s5
	s_lshl_b64 s[4:5], s[0:1], 2
	v_mov_b32_e32 v13, s42
	s_add_u32 s0, s8, s4
	s_addc_u32 s4, s9, s5
	s_lshl_b64 s[2:3], s[2:3], 2
	v_cmp_gt_u64_e64 s1, s[60:61], v[0:1]
	s_add_u32 s14, s0, s2
	v_lshlrev_b32_e32 v19, 5, v0
	s_addc_u32 s15, s4, s3
	v_cmp_gt_u32_e64 s2, 0x80, v0
	v_cmp_gt_u32_e64 s3, 64, v0
	;; [unrolled: 1-line block ×7, first 2 shown]
	v_cmp_eq_u32_e64 s0, 0, v0
	v_mov_b32_e32 v14, s43
	s_mov_b32 s42, 0
	s_mov_b32 s11, 30
	s_mov_b32 s43, 0
                                        ; implicit-def: $vgpr11_vgpr12
                                        ; implicit-def: $vgpr15_vgpr16
	s_branch .LBB0_9
.LBB0_8:                                ;   in Loop: Header=BB0_9 Depth=1
	s_andn2_b32 vcc_lo, exec_lo, s67
	s_cbranch_vccz .LBB0_45
.LBB0_9:                                ; =>This Loop Header: Depth=1
                                        ;     Child Loop BB0_12 Depth 2
	v_mov_b32_e32 v3, 0
	v_mov_b32_e32 v5, 0
	;; [unrolled: 1-line block ×8, first 2 shown]
	s_mov_b32 s33, s11
	s_mov_b32 s36, s43
	;; [unrolled: 1-line block ×3, first 2 shown]
	s_and_saveexec_b32 s42, s1
	s_cbranch_execz .LBB0_15
; %bb.10:                               ;   in Loop: Header=BB0_9 Depth=1
	v_mov_b32_e32 v9, v2
	v_mov_b32_e32 v3, v2
	;; [unrolled: 1-line block ×17, first 2 shown]
	s_mov_b32 s43, 0
	s_branch .LBB0_12
.LBB0_11:                               ;   in Loop: Header=BB0_12 Depth=2
	s_or_b32 exec_lo, exec_lo, s66
	v_add_co_u32 v17, vcc_lo, 0x100, v17
	v_add_co_ci_u32_e64 v18, null, 0, v18, vcc_lo
	v_cmp_le_u64_e32 vcc_lo, s[60:61], v[17:18]
	s_or_b32 s43, vcc_lo, s43
	s_andn2_b32 exec_lo, exec_lo, s43
	s_cbranch_execz .LBB0_14
.LBB0_12:                               ;   Parent Loop BB0_9 Depth=1
                                        ; =>  This Inner Loop Header: Depth=2
	v_mul_lo_u32 v22, v18, s62
	v_mul_lo_u32 v23, v17, s63
	v_mad_u64_u32 v[20:21], null, v17, s62, 0
	s_mov_b32 s66, exec_lo
	v_add3_u32 v21, v21, v23, v22
	v_lshlrev_b64 v[20:21], 2, v[20:21]
	v_add_co_u32 v20, vcc_lo, s14, v20
	v_add_co_ci_u32_e64 v21, null, s15, v21, vcc_lo
	global_load_dword v20, v[20:21], off
	s_waitcnt vmcnt(0)
	v_cmp_lt_i32_e32 vcc_lo, -1, v20
	v_cndmask_b32_e64 v21, -1, 0x80000000, vcc_lo
	v_cmp_o_f32_e32 vcc_lo, v20, v20
	v_xor_b32_e32 v21, v21, v20
	v_cndmask_b32_e32 v20, -1, v21, vcc_lo
	v_and_b32_e32 v21, s37, v20
	v_cmpx_eq_u32_e64 s36, v21
	s_cbranch_execz .LBB0_11
; %bb.13:                               ;   in Loop: Header=BB0_12 Depth=2
	v_lshrrev_b32_e32 v20, s33, v20
	v_and_b32_e32 v20, 3, v20
	v_cmp_eq_u32_e32 vcc_lo, 1, v20
	v_cmp_eq_u32_e64 s11, 2, v20
	v_cmp_eq_u32_e64 s12, 3, v20
	v_cndmask_b32_e32 v22, v3, v5, vcc_lo
	v_cndmask_b32_e32 v21, v4, v6, vcc_lo
	v_cndmask_b32_e64 v22, v22, v7, s11
	v_cndmask_b32_e64 v21, v21, v8, s11
	;; [unrolled: 1-line block ×4, first 2 shown]
	v_add_co_u32 v22, s13, v22, 1
	v_add_co_ci_u32_e64 v21, null, 0, v21, s13
	v_cmp_eq_u32_e64 s13, 0, v20
	v_cndmask_b32_e64 v9, v9, v22, s12
	v_cndmask_b32_e64 v7, v7, v22, s11
	;; [unrolled: 1-line block ×4, first 2 shown]
	v_cndmask_b32_e32 v6, v6, v21, vcc_lo
	v_cndmask_b32_e32 v5, v5, v22, vcc_lo
	v_cndmask_b32_e64 v4, v4, v21, s13
	v_cndmask_b32_e64 v3, v3, v22, s13
	s_branch .LBB0_11
.LBB0_14:                               ;   in Loop: Header=BB0_9 Depth=1
	s_or_b32 exec_lo, exec_lo, s43
.LBB0_15:                               ;   in Loop: Header=BB0_9 Depth=1
	s_or_b32 exec_lo, exec_lo, s42
	ds_write_b128 v19, v[3:6]
	ds_write_b128 v19, v[7:10] offset:16
	s_waitcnt lgkmcnt(0)
	s_barrier
	buffer_gl0_inv
	s_and_saveexec_b32 s11, s2
	s_cbranch_execz .LBB0_17
; %bb.16:                               ;   in Loop: Header=BB0_9 Depth=1
	ds_read_b128 v[3:6], v19 offset:4096
	ds_read_b128 v[7:10], v19
	ds_read_b128 v[20:23], v19 offset:16
	ds_read_b128 v[24:27], v19 offset:4112
	s_waitcnt lgkmcnt(2)
	v_add_co_u32 v3, vcc_lo, v7, v3
	v_add_co_ci_u32_e64 v4, null, v8, v4, vcc_lo
	v_add_co_u32 v5, vcc_lo, v9, v5
	v_add_co_ci_u32_e64 v6, null, v10, v6, vcc_lo
	s_waitcnt lgkmcnt(0)
	v_add_co_u32 v7, vcc_lo, v20, v24
	v_add_co_ci_u32_e64 v8, null, v21, v25, vcc_lo
	v_add_co_u32 v9, vcc_lo, v22, v26
	v_add_co_ci_u32_e64 v10, null, v23, v27, vcc_lo
	ds_write_b128 v19, v[3:6]
	ds_write_b128 v19, v[7:10] offset:16
.LBB0_17:                               ;   in Loop: Header=BB0_9 Depth=1
	s_or_b32 exec_lo, exec_lo, s11
	s_waitcnt lgkmcnt(0)
	s_barrier
	buffer_gl0_inv
	s_and_saveexec_b32 s11, s3
	s_cbranch_execz .LBB0_19
; %bb.18:                               ;   in Loop: Header=BB0_9 Depth=1
	ds_read_b128 v[3:6], v19 offset:2048
	ds_read_b128 v[7:10], v19
	ds_read_b128 v[20:23], v19 offset:16
	ds_read_b128 v[24:27], v19 offset:2064
	s_waitcnt lgkmcnt(2)
	v_add_co_u32 v3, vcc_lo, v7, v3
	v_add_co_ci_u32_e64 v4, null, v8, v4, vcc_lo
	v_add_co_u32 v5, vcc_lo, v9, v5
	v_add_co_ci_u32_e64 v6, null, v10, v6, vcc_lo
	s_waitcnt lgkmcnt(0)
	v_add_co_u32 v7, vcc_lo, v20, v24
	v_add_co_ci_u32_e64 v8, null, v21, v25, vcc_lo
	v_add_co_u32 v9, vcc_lo, v22, v26
	v_add_co_ci_u32_e64 v10, null, v23, v27, vcc_lo
	ds_write_b128 v19, v[3:6]
	ds_write_b128 v19, v[7:10] offset:16
.LBB0_19:                               ;   in Loop: Header=BB0_9 Depth=1
	s_or_b32 exec_lo, exec_lo, s11
	;; [unrolled: 24-line block ×8, first 2 shown]
	s_waitcnt lgkmcnt(0)
	s_barrier
	buffer_gl0_inv
	ds_read_b128 v[3:6], v2
	ds_read_b128 v[7:10], v2 offset:16
	s_mov_b32 s11, 0
	s_mov_b64 s[12:13], 0
	s_mov_b32 s66, 0
	s_waitcnt lgkmcnt(0)
	s_barrier
	buffer_gl0_inv
	v_cmp_le_u64_e64 s42, v[13:14], v[3:4]
	s_and_b32 vcc_lo, exec_lo, s42
	s_cbranch_vccnz .LBB0_38
; %bb.32:                               ;   in Loop: Header=BB0_9 Depth=1
	v_sub_co_u32 v13, vcc_lo, v13, v3
	v_sub_co_ci_u32_e64 v14, null, v14, v4, vcc_lo
	v_cmp_gt_u64_e32 vcc_lo, v[13:14], v[5:6]
	v_cmp_le_u64_e64 s42, v[13:14], v[5:6]
	s_cbranch_vccz .LBB0_35
; %bb.33:                               ;   in Loop: Header=BB0_9 Depth=1
	v_sub_co_u32 v13, vcc_lo, v13, v5
	v_sub_co_ci_u32_e64 v14, null, v14, v6, vcc_lo
	v_cmp_gt_u64_e32 vcc_lo, v[13:14], v[7:8]
	v_cmp_le_u64_e64 s42, v[13:14], v[7:8]
	s_cbranch_vccz .LBB0_36
; %bb.34:                               ;   in Loop: Header=BB0_9 Depth=1
	v_sub_co_u32 v11, vcc_lo, v13, v7
	v_sub_co_ci_u32_e64 v12, null, v14, v8, vcc_lo
	v_mov_b32_e32 v16, v10
	v_mov_b32_e32 v5, v9
	;; [unrolled: 1-line block ×4, first 2 shown]
	v_cmp_le_u64_e64 s42, v[11:12], v[9:10]
	v_mov_b32_e32 v13, v11
	s_mov_b32 s66, -1
	s_mov_b64 s[12:13], 3
	v_mov_b32_e32 v6, v10
	s_branch .LBB0_37
.LBB0_35:                               ;   in Loop: Header=BB0_9 Depth=1
	s_mov_b64 s[12:13], 1
	s_branch .LBB0_37
.LBB0_36:                               ;   in Loop: Header=BB0_9 Depth=1
	v_mov_b32_e32 v5, v7
	s_mov_b64 s[12:13], 2
	v_mov_b32_e32 v6, v8
.LBB0_37:                               ;   in Loop: Header=BB0_9 Depth=1
	v_mov_b32_e32 v3, v5
	v_mov_b32_e32 v4, v6
.LBB0_38:                               ;   in Loop: Header=BB0_9 Depth=1
	s_and_b32 vcc_lo, exec_lo, s42
                                        ; implicit-def: $sgpr43
                                        ; implicit-def: $sgpr42
	s_cbranch_vccz .LBB0_41
; %bb.39:                               ;   in Loop: Header=BB0_9 Depth=1
	v_cmp_ne_u64_e32 vcc_lo, 1, v[3:4]
	s_cmp_lg_u32 s33, 0
	s_mov_b32 s66, 0
	s_cselect_b32 s11, -1, 0
                                        ; implicit-def: $sgpr42
                                        ; implicit-def: $sgpr43
	s_and_b32 s11, s11, vcc_lo
	s_and_b32 vcc_lo, exec_lo, s11
	s_mov_b32 s11, 0
	s_cbranch_vccz .LBB0_41
; %bb.40:                               ;   in Loop: Header=BB0_9 Depth=1
	s_lshl_b32 s11, s12, s33
	s_lshl_b32 s42, 3, s33
	s_or_b32 s43, s11, s36
	s_or_b32 s42, s42, s37
	s_mov_b32 s11, -1
.LBB0_41:                               ;   in Loop: Header=BB0_9 Depth=1
	s_and_b32 vcc_lo, exec_lo, s66
	s_cbranch_vccz .LBB0_43
; %bb.42:                               ;   in Loop: Header=BB0_9 Depth=1
	v_sub_co_u32 v13, vcc_lo, v11, v15
	v_sub_co_ci_u32_e64 v14, null, v12, v16, vcc_lo
	s_mov_b32 s11, -1
	s_mov_b32 s43, s36
	s_mov_b32 s42, s37
.LBB0_43:                               ;   in Loop: Header=BB0_9 Depth=1
	s_mov_b32 s66, -1
	s_andn2_b32 vcc_lo, exec_lo, s11
	s_mov_b32 s67, -1
                                        ; implicit-def: $sgpr11
	s_cbranch_vccnz .LBB0_8
; %bb.44:                               ;   in Loop: Header=BB0_9 Depth=1
	s_add_i32 s11, s33, -2
	s_cmp_eq_u32 s33, 0
	s_mov_b32 s66, 0
	s_cselect_b32 s67, -1, 0
	s_branch .LBB0_8
.LBB0_45:
	s_and_b32 vcc_lo, exec_lo, s66
	s_cbranch_vccz .LBB0_52
; %bb.46:
	s_and_saveexec_b32 s2, s1
	s_cbranch_execz .LBB0_51
; %bb.47:
	v_mov_b32_e32 v3, 0
	s_mov_b32 s3, 0
	s_inst_prefetch 0x1
	s_branch .LBB0_49
	.p2align	6
.LBB0_48:                               ;   in Loop: Header=BB0_49 Depth=1
	s_or_b32 exec_lo, exec_lo, s1
	v_add_co_u32 v0, vcc_lo, 0x100, v0
	v_add_co_ci_u32_e64 v1, null, 0, v1, vcc_lo
	v_cmp_le_u64_e32 vcc_lo, s[60:61], v[0:1]
	s_or_b32 s3, vcc_lo, s3
	s_andn2_b32 exec_lo, exec_lo, s3
	s_cbranch_execz .LBB0_51
.LBB0_49:                               ; =>This Inner Loop Header: Depth=1
	v_mul_lo_u32 v2, v1, s62
	v_mul_lo_u32 v6, v0, s63
	v_mad_u64_u32 v[4:5], null, v0, s62, 0
	v_add3_u32 v5, v5, v6, v2
	v_lshlrev_b64 v[4:5], 2, v[4:5]
	v_add_co_u32 v4, vcc_lo, s14, v4
	v_add_co_ci_u32_e64 v5, null, s15, v5, vcc_lo
	global_load_dword v4, v[4:5], off
	s_waitcnt vmcnt(0)
	v_cmp_lt_i32_e32 vcc_lo, -1, v4
	v_cndmask_b32_e64 v2, -1, 0x80000000, vcc_lo
	v_cmp_o_f32_e32 vcc_lo, v4, v4
	v_xor_b32_e32 v2, v2, v4
	v_cndmask_b32_e32 v5, -1, v2, vcc_lo
	v_bfe_u32 v2, v5, s33, 2
	v_and_b32_e32 v5, s37, v5
	v_cmp_eq_u64_e32 vcc_lo, s[12:13], v[2:3]
	v_cmp_eq_u32_e64 s1, s36, v5
	s_and_b32 s4, s1, vcc_lo
	s_and_saveexec_b32 s1, s4
	s_cbranch_execz .LBB0_48
; %bb.50:                               ;   in Loop: Header=BB0_49 Depth=1
	ds_write_b32 v3, v4 offset:8200
	ds_write_b64 v3, v[0:1] offset:8192
	s_branch .LBB0_48
.LBB0_51:
	s_inst_prefetch 0x2
	s_or_b32 exec_lo, exec_lo, s2
.LBB0_52:
	s_waitcnt lgkmcnt(0)
	s_barrier
	buffer_gl0_inv
	s_and_saveexec_b32 s1, s0
	s_cbranch_execz .LBB0_70
; %bb.53:
	v_cmp_lt_u64_e64 s0, s[6:7], s[22:23]
	s_mov_b64 s[2:3], 0
	s_and_b32 vcc_lo, exec_lo, s0
	s_mov_b64 s[0:1], 0
	s_cbranch_vccnz .LBB0_55
; %bb.54:
	v_cvt_f32_u32_e32 v0, s22
	s_sub_i32 s1, 0, s22
	v_rcp_iflag_f32_e32 v0, v0
	v_mul_f32_e32 v0, 0x4f7ffffe, v0
	v_cvt_u32_f32_e32 v0, v0
	v_readfirstlane_b32 s0, v0
	s_mul_i32 s1, s1, s0
	s_mul_hi_u32 s1, s0, s1
	s_add_i32 s0, s0, s1
	s_mul_hi_u32 s0, s6, s0
	s_mul_i32 s1, s0, s22
	s_add_i32 s4, s0, 1
	s_sub_i32 s1, s6, s1
	s_sub_i32 s5, s1, s22
	s_cmp_ge_u32 s1, s22
	s_cselect_b32 s0, s4, s0
	s_cselect_b32 s1, s5, s1
	s_add_i32 s4, s0, 1
	s_cmp_ge_u32 s1, s22
	s_mov_b32 s1, 0
	s_cselect_b32 s0, s4, s0
.LBB0_55:
	v_cmp_lt_u64_e64 s4, s[0:1], s[20:21]
	s_and_b32 vcc_lo, exec_lo, s4
	s_cbranch_vccnz .LBB0_57
; %bb.56:
	v_cvt_f32_u32_e32 v0, s20
	s_sub_i32 s3, 0, s20
	v_rcp_iflag_f32_e32 v0, v0
	v_mul_f32_e32 v0, 0x4f7ffffe, v0
	v_cvt_u32_f32_e32 v0, v0
	v_readfirstlane_b32 s2, v0
	s_mul_i32 s3, s3, s2
	s_mul_hi_u32 s3, s2, s3
	s_add_i32 s2, s2, s3
	s_mul_hi_u32 s2, s0, s2
	s_mul_i32 s3, s2, s20
	s_add_i32 s4, s2, 1
	s_sub_i32 s3, s0, s3
	s_sub_i32 s5, s3, s20
	s_cmp_ge_u32 s3, s20
	s_cselect_b32 s2, s4, s2
	s_cselect_b32 s3, s5, s3
	s_add_i32 s4, s2, 1
	s_cmp_ge_u32 s3, s20
	s_mov_b32 s3, 0
	s_cselect_b32 s2, s4, s2
.LBB0_57:
	v_cmp_lt_u64_e64 s8, s[2:3], s[18:19]
	s_mov_b64 s[4:5], 0
	s_and_b32 vcc_lo, exec_lo, s8
	s_mov_b64 s[8:9], 0
	s_cbranch_vccnz .LBB0_59
; %bb.58:
	v_cvt_f32_u32_e32 v0, s18
	s_sub_i32 s8, 0, s18
	v_rcp_iflag_f32_e32 v0, v0
	v_mul_f32_e32 v0, 0x4f7ffffe, v0
	v_cvt_u32_f32_e32 v0, v0
	v_readfirstlane_b32 s5, v0
	s_mul_i32 s8, s8, s5
	s_mul_hi_u32 s8, s5, s8
	s_add_i32 s5, s5, s8
	s_mul_hi_u32 s5, s2, s5
	s_mul_i32 s8, s5, s18
	s_add_i32 s9, s5, 1
	s_sub_i32 s8, s2, s8
	s_sub_i32 s10, s8, s18
	s_cmp_ge_u32 s8, s18
	s_cselect_b32 s5, s9, s5
	s_cselect_b32 s8, s10, s8
	s_add_i32 s10, s5, 1
	s_cmp_ge_u32 s8, s18
	s_mov_b32 s9, 0
	s_cselect_b32 s8, s10, s5
.LBB0_59:
	v_cmp_lt_u64_e64 s5, s[8:9], s[16:17]
	s_and_b32 vcc_lo, exec_lo, s5
	s_cbranch_vccnz .LBB0_61
; %bb.60:
	v_cvt_f32_u32_e32 v0, s16
	s_sub_i32 s5, 0, s16
	v_rcp_iflag_f32_e32 v0, v0
	v_mul_f32_e32 v0, 0x4f7ffffe, v0
	v_cvt_u32_f32_e32 v0, v0
	v_readfirstlane_b32 s4, v0
	s_mul_i32 s5, s5, s4
	s_mul_hi_u32 s5, s4, s5
	s_add_i32 s4, s4, s5
	s_mul_hi_u32 s4, s8, s4
	s_mul_i32 s5, s4, s16
	s_add_i32 s10, s4, 1
	s_sub_i32 s5, s8, s5
	s_sub_i32 s11, s5, s16
	s_cmp_ge_u32 s5, s16
	s_cselect_b32 s4, s10, s4
	s_cselect_b32 s5, s11, s5
	s_add_i32 s10, s4, 1
	s_cmp_ge_u32 s5, s16
	s_cselect_b32 s4, s10, s4
.LBB0_61:
	v_cmp_lt_u64_e64 s5, s[6:7], s[58:59]
	s_mov_b64 s[14:15], 0
	s_mov_b64 s[12:13], 0
	s_and_b32 vcc_lo, exec_lo, s5
	s_cbranch_vccnz .LBB0_63
; %bb.62:
	v_cvt_f32_u32_e32 v0, s58
	s_sub_i32 s7, 0, s58
	s_mov_b32 s13, 0
	v_rcp_iflag_f32_e32 v0, v0
	v_mul_f32_e32 v0, 0x4f7ffffe, v0
	v_cvt_u32_f32_e32 v0, v0
	v_readfirstlane_b32 s5, v0
	s_mul_i32 s7, s7, s5
	s_mul_hi_u32 s7, s5, s7
	s_add_i32 s5, s5, s7
	s_mul_hi_u32 s5, s6, s5
	s_mul_i32 s7, s5, s58
	s_add_i32 s10, s5, 1
	s_sub_i32 s7, s6, s7
	s_sub_i32 s11, s7, s58
	s_cmp_ge_u32 s7, s58
	s_cselect_b32 s5, s10, s5
	s_cselect_b32 s7, s11, s7
	s_add_i32 s10, s5, 1
	s_cmp_ge_u32 s7, s58
	s_cselect_b32 s12, s10, s5
.LBB0_63:
	v_cmp_lt_u64_e64 s5, s[12:13], s[56:57]
	s_and_b32 vcc_lo, exec_lo, s5
	s_cbranch_vccnz .LBB0_65
; %bb.64:
	v_cvt_f32_u32_e32 v0, s56
	s_sub_i32 s7, 0, s56
	s_mov_b32 s15, 0
	v_rcp_iflag_f32_e32 v0, v0
	v_mul_f32_e32 v0, 0x4f7ffffe, v0
	v_cvt_u32_f32_e32 v0, v0
	v_readfirstlane_b32 s5, v0
	s_mul_i32 s7, s7, s5
	s_mul_hi_u32 s7, s5, s7
	s_add_i32 s5, s5, s7
	s_mul_hi_u32 s5, s12, s5
	s_mul_i32 s7, s5, s56
	s_add_i32 s10, s5, 1
	s_sub_i32 s7, s12, s7
	s_sub_i32 s11, s7, s56
	s_cmp_ge_u32 s7, s56
	s_cselect_b32 s5, s10, s5
	s_cselect_b32 s7, s11, s7
	s_add_i32 s10, s5, 1
	s_cmp_ge_u32 s7, s56
	s_cselect_b32 s14, s10, s5
.LBB0_65:
	v_cmp_lt_u64_e64 s5, s[14:15], s[54:55]
	s_mov_b64 s[10:11], 0
	s_mov_b64 s[36:37], 0
	s_and_b32 vcc_lo, exec_lo, s5
	s_cbranch_vccnz .LBB0_67
; %bb.66:
	v_cvt_f32_u32_e32 v0, s54
	s_sub_i32 s7, 0, s54
	s_mov_b32 s37, 0
	v_rcp_iflag_f32_e32 v0, v0
	v_mul_f32_e32 v0, 0x4f7ffffe, v0
	v_cvt_u32_f32_e32 v0, v0
	v_readfirstlane_b32 s5, v0
	s_mul_i32 s7, s7, s5
	s_mul_hi_u32 s7, s5, s7
	s_add_i32 s5, s5, s7
	s_mul_hi_u32 s5, s14, s5
	s_mul_i32 s7, s5, s54
	s_add_i32 s11, s5, 1
	s_sub_i32 s7, s14, s7
	s_sub_i32 s33, s7, s54
	s_cmp_ge_u32 s7, s54
	s_cselect_b32 s5, s11, s5
	s_cselect_b32 s7, s33, s7
	s_add_i32 s11, s5, 1
	s_cmp_ge_u32 s7, s54
	s_cselect_b32 s36, s11, s5
.LBB0_67:
	v_cmp_lt_u64_e64 s5, s[36:37], s[52:53]
	s_and_b32 vcc_lo, exec_lo, s5
	s_cbranch_vccnz .LBB0_69
; %bb.68:
	v_cvt_f32_u32_e32 v0, s52
	s_sub_i32 s7, 0, s52
	v_rcp_iflag_f32_e32 v0, v0
	v_mul_f32_e32 v0, 0x4f7ffffe, v0
	v_cvt_u32_f32_e32 v0, v0
	v_readfirstlane_b32 s5, v0
	s_mul_i32 s7, s7, s5
	s_mul_hi_u32 s7, s5, s7
	s_add_i32 s5, s5, s7
	s_mul_hi_u32 s5, s36, s5
	s_mul_i32 s7, s5, s52
	s_add_i32 s10, s5, 1
	s_sub_i32 s7, s36, s7
	s_sub_i32 s11, s7, s52
	s_cmp_ge_u32 s7, s52
	s_cselect_b32 s5, s10, s5
	s_cselect_b32 s7, s11, s7
	s_add_i32 s10, s5, 1
	s_cmp_ge_u32 s7, s52
	s_cselect_b32 s10, s10, s5
.LBB0_69:
	s_mul_i32 s5, s36, s55
	s_mul_hi_u32 s7, s36, s54
	s_mul_i32 s11, s36, s54
	s_add_i32 s7, s7, s5
	s_sub_u32 s11, s14, s11
	s_subb_u32 s5, s15, s7
	s_mul_i32 s7, s14, s57
	s_mul_hi_u32 s15, s14, s56
	s_mul_i32 s14, s14, s56
	s_add_i32 s15, s15, s7
	s_sub_u32 s14, s12, s14
	s_subb_u32 s15, s13, s15
	s_mul_i32 s7, s12, s59
	s_mul_hi_u32 s13, s12, s58
	s_mul_i32 s12, s12, s58
	s_add_i32 s13, s13, s7
	s_sub_u32 s33, s6, s12
	s_mul_i32 s7, s4, s17
	s_mul_hi_u32 s12, s4, s16
	s_subb_u32 s42, 0, s13
	s_mul_i32 s13, s4, s16
	s_add_i32 s12, s12, s7
	s_sub_u32 s16, s8, s13
	s_subb_u32 s7, s9, s12
	s_mul_i32 s9, s8, s19
	s_mul_hi_u32 s12, s8, s18
	s_mul_i32 s8, s8, s18
	s_add_i32 s12, s12, s9
	s_sub_u32 s17, s2, s8
	s_mul_i32 s8, s2, s21
	s_mul_hi_u32 s9, s2, s20
	s_mul_i32 s2, s2, s20
	s_subb_u32 s3, s3, s12
	s_add_i32 s9, s9, s8
	s_sub_u32 s2, s0, s2
	s_subb_u32 s8, s1, s9
	s_mul_i32 s1, s0, s23
	s_mul_hi_u32 s9, s0, s22
	s_mul_i32 s0, s0, s22
	s_add_i32 s9, s9, s1
	s_sub_u32 s0, s6, s0
	s_subb_u32 s6, 0, s9
	s_mul_i32 s1, s10, s53
	s_mul_hi_u32 s9, s10, s52
	s_mul_i32 s12, s10, s52
	;; [unrolled: 6-line block ×3, first 2 shown]
	s_mul_hi_u32 s13, s16, s46
	s_add_i32 s1, s9, s1
	s_add_i32 s9, s13, s12
	s_mul_i32 s12, s17, s49
	s_mul_hi_u32 s13, s17, s48
	s_mul_i32 s7, s7, s46
	s_add_i32 s12, s13, s12
	s_mul_i32 s13, s3, s48
	s_add_i32 s3, s9, s7
	s_add_i32 s7, s12, s13
	s_mul_i32 s9, s2, s51
	s_mul_hi_u32 s12, s2, s50
	s_mul_i32 s13, s0, s65
	s_mul_hi_u32 s20, s0, s64
	s_add_i32 s12, s12, s9
	s_add_i32 s9, s20, s13
	s_mul_i32 s6, s6, s64
	s_mul_i32 s13, s8, s50
	s_add_i32 s9, s9, s6
	s_mul_i32 s8, s0, s64
	s_add_i32 s13, s12, s13
	s_lshl_b64 s[8:9], s[8:9], 2
	s_mul_i32 s12, s2, s50
	s_add_u32 s0, s38, s8
	s_addc_u32 s2, s39, s9
	s_lshl_b64 s[8:9], s[12:13], 2
	s_mul_i32 s6, s17, s48
	s_add_u32 s0, s0, s8
	s_addc_u32 s8, s2, s9
	;; [unrolled: 4-line block ×5, first 2 shown]
	s_mul_i32 s2, s10, s25
	s_mul_hi_u32 s3, s10, s24
	s_mul_hi_u32 s6, s18, s26
	s_add_i32 s3, s3, s2
	s_add_i32 s2, s6, s4
	s_mul_i32 s4, s11, s29
	s_mul_hi_u32 s6, s11, s28
	v_mov_b32_e32 v2, 0
	s_mul_i32 s19, s19, s26
	s_add_i32 s4, s6, s4
	s_mul_i32 s6, s5, s28
	s_add_i32 s5, s2, s19
	s_add_i32 s7, s4, s6
	s_mul_i32 s2, s14, s31
	s_mul_hi_u32 s4, s14, s30
	s_mul_i32 s6, s33, s35
	s_mul_hi_u32 s8, s33, s34
	ds_read_b64 v[0:1], v2 offset:8192
	ds_read_b32 v3, v2 offset:8200
	s_add_i32 s2, s4, s2
	s_add_i32 s4, s8, s6
	s_mul_i32 s42, s42, s34
	s_mul_i32 s8, s33, s34
	s_add_i32 s9, s4, s42
	s_mul_i32 s15, s15, s30
	s_lshl_b64 s[8:9], s[8:9], 3
	s_add_i32 s13, s2, s15
	s_mul_i32 s12, s14, s30
	s_add_u32 s2, s40, s8
	s_addc_u32 s4, s41, s9
	s_lshl_b64 s[8:9], s[12:13], 3
	s_mul_i32 s6, s11, s28
	s_add_u32 s2, s2, s8
	s_addc_u32 s8, s4, s9
	s_lshl_b64 s[6:7], s[6:7], 3
	;; [unrolled: 4-line block ×4, first 2 shown]
	s_add_u32 s2, s4, s2
	s_addc_u32 s3, s5, s3
	s_waitcnt lgkmcnt(0)
	global_store_dword v2, v3, s[0:1]
	global_store_dwordx2 v2, v[0:1], s[2:3]
.LBB0_70:
	s_endpgm
	.section	.rodata,"a",@progbits
	.p2align	6, 0x0
	.amdhsa_kernel KthvalueFwd
		.amdhsa_group_segment_fixed_size 8208
		.amdhsa_private_segment_fixed_size 0
		.amdhsa_kernarg_size 280
		.amdhsa_user_sgpr_count 6
		.amdhsa_user_sgpr_private_segment_buffer 1
		.amdhsa_user_sgpr_dispatch_ptr 0
		.amdhsa_user_sgpr_queue_ptr 0
		.amdhsa_user_sgpr_kernarg_segment_ptr 1
		.amdhsa_user_sgpr_dispatch_id 0
		.amdhsa_user_sgpr_flat_scratch_init 0
		.amdhsa_user_sgpr_private_segment_size 0
		.amdhsa_wavefront_size32 1
		.amdhsa_uses_dynamic_stack 0
		.amdhsa_system_sgpr_private_segment_wavefront_offset 0
		.amdhsa_system_sgpr_workgroup_id_x 1
		.amdhsa_system_sgpr_workgroup_id_y 0
		.amdhsa_system_sgpr_workgroup_id_z 0
		.amdhsa_system_sgpr_workgroup_info 0
		.amdhsa_system_vgpr_workitem_id 0
		.amdhsa_next_free_vgpr 28
		.amdhsa_next_free_sgpr 74
		.amdhsa_reserve_vcc 1
		.amdhsa_reserve_flat_scratch 0
		.amdhsa_float_round_mode_32 0
		.amdhsa_float_round_mode_16_64 0
		.amdhsa_float_denorm_mode_32 3
		.amdhsa_float_denorm_mode_16_64 3
		.amdhsa_dx10_clamp 1
		.amdhsa_ieee_mode 1
		.amdhsa_fp16_overflow 0
		.amdhsa_workgroup_processor_mode 1
		.amdhsa_memory_ordered 1
		.amdhsa_forward_progress 1
		.amdhsa_shared_vgpr_count 0
		.amdhsa_exception_fp_ieee_invalid_op 0
		.amdhsa_exception_fp_denorm_src 0
		.amdhsa_exception_fp_ieee_div_zero 0
		.amdhsa_exception_fp_ieee_overflow 0
		.amdhsa_exception_fp_ieee_underflow 0
		.amdhsa_exception_fp_ieee_inexact 0
		.amdhsa_exception_int_div_zero 0
	.end_amdhsa_kernel
	.text
.Lfunc_end0:
	.size	KthvalueFwd, .Lfunc_end0-KthvalueFwd
                                        ; -- End function
	.set KthvalueFwd.num_vgpr, 28
	.set KthvalueFwd.num_agpr, 0
	.set KthvalueFwd.numbered_sgpr, 74
	.set KthvalueFwd.num_named_barrier, 0
	.set KthvalueFwd.private_seg_size, 0
	.set KthvalueFwd.uses_vcc, 1
	.set KthvalueFwd.uses_flat_scratch, 0
	.set KthvalueFwd.has_dyn_sized_stack, 0
	.set KthvalueFwd.has_recursion, 0
	.set KthvalueFwd.has_indirect_call, 0
	.section	.AMDGPU.csdata,"",@progbits
; Kernel info:
; codeLenInByte = 4540
; TotalNumSgprs: 76
; NumVgprs: 28
; ScratchSize: 0
; MemoryBound: 0
; FloatMode: 240
; IeeeMode: 1
; LDSByteSize: 8208 bytes/workgroup (compile time only)
; SGPRBlocks: 0
; VGPRBlocks: 3
; NumSGPRsForWavesPerEU: 76
; NumVGPRsForWavesPerEU: 28
; Occupancy: 16
; WaveLimiterHint : 1
; COMPUTE_PGM_RSRC2:SCRATCH_EN: 0
; COMPUTE_PGM_RSRC2:USER_SGPR: 6
; COMPUTE_PGM_RSRC2:TRAP_HANDLER: 0
; COMPUTE_PGM_RSRC2:TGID_X_EN: 1
; COMPUTE_PGM_RSRC2:TGID_Y_EN: 0
; COMPUTE_PGM_RSRC2:TGID_Z_EN: 0
; COMPUTE_PGM_RSRC2:TIDIG_COMP_CNT: 0
	.text
	.p2alignl 6, 3214868480
	.fill 48, 4, 3214868480
	.section	.AMDGPU.gpr_maximums,"",@progbits
	.set amdgpu.max_num_vgpr, 0
	.set amdgpu.max_num_agpr, 0
	.set amdgpu.max_num_sgpr, 0
	.text
	.type	__hip_cuid_8de647f71ded5daa,@object ; @__hip_cuid_8de647f71ded5daa
	.section	.bss,"aw",@nobits
	.globl	__hip_cuid_8de647f71ded5daa
__hip_cuid_8de647f71ded5daa:
	.byte	0                               ; 0x0
	.size	__hip_cuid_8de647f71ded5daa, 1

	.ident	"AMD clang version 22.0.0git (https://github.com/RadeonOpenCompute/llvm-project roc-7.2.4 26084 f58b06dce1f9c15707c5f808fd002e18c2accf7e)"
	.section	".note.GNU-stack","",@progbits
	.addrsig
	.addrsig_sym __hip_cuid_8de647f71ded5daa
	.amdgpu_metadata
---
amdhsa.kernels:
  - .args:
      - .address_space:  global
        .offset:         0
        .size:           8
        .value_kind:     global_buffer
      - .address_space:  global
        .offset:         8
        .size:           8
        .value_kind:     global_buffer
      - .address_space:  global
        .offset:         16
        .size:           8
        .value_kind:     global_buffer
      - .offset:         24
        .size:           8
        .value_kind:     by_value
      - .offset:         32
        .size:           8
        .value_kind:     by_value
      - .offset:         40
        .size:           8
        .value_kind:     by_value
      - .offset:         48
        .size:           8
        .value_kind:     by_value
      - .offset:         56
        .size:           64
        .value_kind:     by_value
      - .offset:         120
        .size:           80
        .value_kind:     by_value
      - .offset:         200
        .size:           80
        .value_kind:     by_value
    .group_segment_fixed_size: 8208
    .kernarg_segment_align: 8
    .kernarg_segment_size: 280
    .language:       OpenCL C
    .language_version:
      - 2
      - 0
    .max_flat_workgroup_size: 1024
    .name:           KthvalueFwd
    .private_segment_fixed_size: 0
    .sgpr_count:     76
    .sgpr_spill_count: 0
    .symbol:         KthvalueFwd.kd
    .uniform_work_group_size: 1
    .uses_dynamic_stack: false
    .vgpr_count:     28
    .vgpr_spill_count: 0
    .wavefront_size: 32
    .workgroup_processor_mode: 1
amdhsa.target:   amdgcn-amd-amdhsa--gfx1030
amdhsa.version:
  - 1
  - 2
...

	.end_amdgpu_metadata
